;; amdgpu-corpus repo=ROCm/rocFFT kind=compiled arch=gfx906 opt=O3
	.text
	.amdgcn_target "amdgcn-amd-amdhsa--gfx906"
	.amdhsa_code_object_version 6
	.protected	fft_rtc_back_len112_factors_4_4_7_wgs_126_tpt_7_halfLds_dim1_sp_op_CI_CI_unitstride_sbrr_R2C_dirReg ; -- Begin function fft_rtc_back_len112_factors_4_4_7_wgs_126_tpt_7_halfLds_dim1_sp_op_CI_CI_unitstride_sbrr_R2C_dirReg
	.globl	fft_rtc_back_len112_factors_4_4_7_wgs_126_tpt_7_halfLds_dim1_sp_op_CI_CI_unitstride_sbrr_R2C_dirReg
	.p2align	8
	.type	fft_rtc_back_len112_factors_4_4_7_wgs_126_tpt_7_halfLds_dim1_sp_op_CI_CI_unitstride_sbrr_R2C_dirReg,@function
fft_rtc_back_len112_factors_4_4_7_wgs_126_tpt_7_halfLds_dim1_sp_op_CI_CI_unitstride_sbrr_R2C_dirReg: ; @fft_rtc_back_len112_factors_4_4_7_wgs_126_tpt_7_halfLds_dim1_sp_op_CI_CI_unitstride_sbrr_R2C_dirReg
; %bb.0:
	v_mul_u32_u24_e32 v1, 0x2493, v0
	v_lshrrev_b32_e32 v1, 16, v1
	v_mad_u64_u32 v[39:40], s[0:1], s6, 18, v[1:2]
	s_mov_b32 s0, 0x38e38e39
	v_mov_b32_e32 v40, 0
	v_mul_hi_u32 v2, v39, s0
	s_load_dwordx2 s[8:9], s[4:5], 0x0
	s_load_dwordx2 s[0:1], s[4:5], 0x20
	s_movk_i32 s2, 0x2493
                                        ; implicit-def: $vgpr38
                                        ; implicit-def: $vgpr36
                                        ; implicit-def: $vgpr37
                                        ; implicit-def: $vgpr42
	v_lshrrev_b32_e32 v2, 2, v2
	v_mul_lo_u32 v2, v2, 18
	s_waitcnt lgkmcnt(0)
	v_cmp_gt_u64_e32 vcc, s[0:1], v[39:40]
	v_cmp_le_u64_e64 s[0:1], s[0:1], v[39:40]
                                        ; implicit-def: $vgpr40
	v_sub_u32_e32 v2, v39, v2
	s_and_saveexec_b64 s[6:7], s[0:1]
	s_xor_b64 s[0:1], exec, s[6:7]
; %bb.1:
	v_mul_u32_u24_sdwa v1, v0, s2 dst_sel:DWORD dst_unused:UNUSED_PAD src0_sel:WORD_0 src1_sel:DWORD
	v_mov_b32_e32 v3, 7
	v_mul_lo_u16_sdwa v1, v1, v3 dst_sel:DWORD dst_unused:UNUSED_PAD src0_sel:WORD_1 src1_sel:DWORD
	v_sub_u16_e32 v36, v0, v1
	v_sub_u16_e32 v38, v0, v1
	v_add_u32_e32 v37, 7, v36
	v_add_u32_e32 v42, 14, v36
	;; [unrolled: 1-line block ×3, first 2 shown]
                                        ; implicit-def: $vgpr1
                                        ; implicit-def: $vgpr0
; %bb.2:
	s_or_saveexec_b64 s[2:3], s[0:1]
	s_load_dwordx2 s[6:7], s[4:5], 0x18
	v_mul_u32_u24_e32 v2, 0x71, v2
	v_lshlrev_b32_e32 v2, 3, v2
	s_xor_b64 exec, exec, s[2:3]
	s_cbranch_execz .LBB0_4
; %bb.3:
	s_load_dwordx2 s[0:1], s[4:5], 0x10
	s_load_dwordx2 s[10:11], s[4:5], 0x50
	v_mul_lo_u16_e32 v35, 7, v1
	v_sub_u16_e32 v36, v0, v35
	v_sub_u16_e32 v38, v0, v35
	s_waitcnt lgkmcnt(0)
	s_load_dwordx2 s[0:1], s[0:1], 0x8
	v_add_u32_e32 v37, 7, v36
	v_add_u32_e32 v42, 14, v36
	;; [unrolled: 1-line block ×3, first 2 shown]
	s_waitcnt lgkmcnt(0)
	v_mad_u64_u32 v[3:4], s[12:13], s0, v39, 0
	v_mov_b32_e32 v1, v4
	v_mad_u64_u32 v[4:5], s[0:1], s1, v39, v[1:2]
	v_mov_b32_e32 v5, s11
	v_lshlrev_b32_e32 v1, 3, v36
	v_lshlrev_b64 v[3:4], 3, v[3:4]
	v_add3_u32 v0, 0, v2, v1
	v_add_co_u32_e64 v3, s[0:1], s10, v3
	v_addc_co_u32_e64 v4, s[0:1], v5, v4, s[0:1]
	v_add_co_u32_e64 v3, s[0:1], v3, v1
	v_addc_co_u32_e64 v4, s[0:1], 0, v4, s[0:1]
	global_load_dwordx2 v[5:6], v[3:4], off
	global_load_dwordx2 v[7:8], v[3:4], off offset:56
	global_load_dwordx2 v[9:10], v[3:4], off offset:112
	;; [unrolled: 1-line block ×14, first 2 shown]
	s_nop 0
	global_load_dwordx2 v[3:4], v[3:4], off offset:840
	s_waitcnt vmcnt(14)
	ds_write2_b64 v0, v[5:6], v[7:8] offset1:7
	s_waitcnt vmcnt(12)
	ds_write2_b64 v0, v[9:10], v[11:12] offset0:14 offset1:21
	s_waitcnt vmcnt(10)
	ds_write2_b64 v0, v[13:14], v[15:16] offset0:28 offset1:35
	;; [unrolled: 2-line block ×7, first 2 shown]
.LBB0_4:
	s_or_b64 exec, exec, s[2:3]
	v_lshlrev_b32_e32 v41, 3, v36
	v_add_u32_e32 v49, 0, v2
	v_add3_u32 v51, 0, v41, v2
	s_waitcnt lgkmcnt(0)
	s_load_dwordx2 s[6:7], s[6:7], 0x8
	s_waitcnt lgkmcnt(0)
	s_barrier
	v_add_u32_e32 v50, v49, v41
	ds_read2_b64 v[0:3], v51 offset0:49 offset1:56
	ds_read_b64 v[12:13], v50
	ds_read2_b64 v[4:7], v51 offset0:21 offset1:28
	ds_read_b64 v[26:27], v51 offset:840
	ds_read2_b64 v[8:11], v51 offset0:77 offset1:84
	v_lshl_add_u32 v32, v36, 5, v49
	s_waitcnt lgkmcnt(3)
	v_sub_f32_e32 v14, v12, v2
	v_sub_f32_e32 v15, v13, v3
	v_fma_f32 v12, v12, 2.0, -v14
	s_waitcnt lgkmcnt(0)
	v_sub_f32_e32 v10, v6, v10
	v_sub_f32_e32 v11, v7, v11
	v_fma_f32 v13, v13, 2.0, -v15
	v_fma_f32 v2, v6, 2.0, -v10
	;; [unrolled: 1-line block ×3, first 2 shown]
	v_sub_f32_e32 v2, v12, v2
	v_sub_f32_e32 v3, v13, v3
	v_add_f32_e32 v28, v14, v11
	v_sub_f32_e32 v29, v15, v10
	v_fma_f32 v6, v12, 2.0, -v2
	v_fma_f32 v7, v13, 2.0, -v3
	;; [unrolled: 1-line block ×4, first 2 shown]
	ds_read2_b64 v[10:13], v51 offset0:7 offset1:14
	ds_read2_b64 v[14:17], v51 offset0:35 offset1:42
	;; [unrolled: 1-line block ×4, first 2 shown]
	s_waitcnt lgkmcnt(0)
	s_barrier
	v_sub_f32_e32 v18, v10, v18
	v_sub_f32_e32 v19, v11, v19
	ds_write2_b64 v32, v[6:7], v[30:31] offset1:1
	ds_write2_b64 v32, v[2:3], v[28:29] offset0:2 offset1:3
	v_fma_f32 v6, v10, 2.0, -v18
	v_fma_f32 v7, v11, 2.0, -v19
	v_sub_f32_e32 v11, v14, v22
	v_sub_f32_e32 v10, v15, v23
	v_fma_f32 v2, v14, 2.0, -v11
	v_fma_f32 v3, v15, 2.0, -v10
	v_sub_f32_e32 v2, v6, v2
	v_sub_f32_e32 v3, v7, v3
	v_add_f32_e32 v10, v18, v10
	v_sub_f32_e32 v11, v19, v11
	v_fma_f32 v6, v6, 2.0, -v2
	v_fma_f32 v7, v7, 2.0, -v3
	;; [unrolled: 1-line block ×4, first 2 shown]
	v_lshl_add_u32 v18, v37, 5, v49
	ds_write2_b64 v18, v[6:7], v[14:15] offset1:1
	ds_write2_b64 v18, v[2:3], v[10:11] offset0:2 offset1:3
	v_sub_f32_e32 v14, v12, v20
	v_sub_f32_e32 v15, v13, v21
	;; [unrolled: 1-line block ×4, first 2 shown]
	v_fma_f32 v6, v12, 2.0, -v14
	v_fma_f32 v7, v13, 2.0, -v15
	;; [unrolled: 1-line block ×4, first 2 shown]
	v_sub_f32_e32 v2, v6, v2
	v_sub_f32_e32 v3, v7, v3
	v_add_f32_e32 v10, v14, v10
	v_sub_f32_e32 v11, v15, v11
	v_fma_f32 v6, v6, 2.0, -v2
	v_fma_f32 v7, v7, 2.0, -v3
	;; [unrolled: 1-line block ×4, first 2 shown]
	v_lshl_add_u32 v32, v42, 5, v49
	ds_write2_b64 v32, v[6:7], v[12:13] offset1:1
	v_sub_f32_e32 v8, v4, v8
	v_sub_f32_e32 v9, v5, v9
	;; [unrolled: 1-line block ×4, first 2 shown]
	v_fma_f32 v4, v4, 2.0, -v8
	v_fma_f32 v5, v5, 2.0, -v9
	;; [unrolled: 1-line block ×4, first 2 shown]
	v_sub_f32_e32 v0, v4, v0
	v_sub_f32_e32 v1, v5, v1
	v_add_f32_e32 v6, v8, v6
	v_sub_f32_e32 v7, v9, v7
	v_fma_f32 v4, v4, 2.0, -v0
	v_fma_f32 v5, v5, 2.0, -v1
	;; [unrolled: 1-line block ×4, first 2 shown]
	v_lshl_add_u32 v33, v40, 5, v49
	v_and_b32_e32 v34, 3, v36
	ds_write2_b64 v32, v[2:3], v[10:11] offset0:2 offset1:3
	ds_write2_b64 v33, v[4:5], v[8:9] offset1:1
	ds_write2_b64 v33, v[0:1], v[6:7] offset0:2 offset1:3
	v_mul_u32_u24_e32 v0, 3, v34
	v_lshlrev_b32_e32 v16, 3, v0
	v_and_b32_e32 v35, 3, v37
	s_waitcnt lgkmcnt(0)
	s_barrier
	global_load_dwordx4 v[0:3], v16, s[8:9]
	v_mul_u32_u24_e32 v4, 3, v35
	v_lshlrev_b32_e32 v17, 3, v4
	global_load_dwordx4 v[4:7], v17, s[8:9]
	v_and_b32_e32 v43, 3, v42
	v_mul_u32_u24_e32 v8, 3, v43
	v_lshlrev_b32_e32 v18, 3, v8
	global_load_dwordx4 v[8:11], v18, s[8:9]
	v_and_b32_e32 v45, 3, v40
	v_mul_u32_u24_e32 v12, 3, v45
	v_lshlrev_b32_e32 v19, 3, v12
	global_load_dwordx4 v[12:15], v19, s[8:9]
	global_load_dwordx2 v[24:25], v16, s[8:9] offset:16
	global_load_dwordx2 v[26:27], v17, s[8:9] offset:16
	;; [unrolled: 1-line block ×4, first 2 shown]
	ds_read2_b64 v[16:19], v51 offset0:28 offset1:35
	ds_read2_b64 v[20:23], v51 offset0:56 offset1:63
	s_movk_i32 s0, 0xffe8
	v_lshl_add_u32 v52, v37, 3, v49
	s_waitcnt vmcnt(7) lgkmcnt(1)
	v_mul_f32_e32 v44, v1, v17
	v_mul_f32_e32 v1, v1, v16
	v_fmac_f32_e32 v44, v0, v16
	v_fma_f32 v16, v0, v17, -v1
	s_waitcnt lgkmcnt(0)
	v_mul_f32_e32 v17, v3, v21
	v_mul_f32_e32 v0, v3, v20
	v_fmac_f32_e32 v17, v2, v20
	v_fma_f32 v20, v2, v21, -v0
	s_waitcnt vmcnt(6)
	v_mul_f32_e32 v21, v19, v5
	v_mul_f32_e32 v0, v18, v5
	v_fmac_f32_e32 v21, v18, v4
	v_fma_f32 v18, v19, v4, -v0
	ds_read2_b64 v[0:3], v51 offset0:42 offset1:49
	v_mul_f32_e32 v19, v23, v7
	v_mul_f32_e32 v4, v22, v7
	v_fmac_f32_e32 v19, v22, v6
	v_fma_f32 v22, v23, v6, -v4
	ds_read2_b64 v[4:7], v51 offset0:70 offset1:77
	s_waitcnt vmcnt(5) lgkmcnt(1)
	v_mul_f32_e32 v23, v1, v9
	v_fmac_f32_e32 v23, v0, v8
	v_mul_f32_e32 v0, v0, v9
	v_fma_f32 v46, v1, v8, -v0
	s_waitcnt lgkmcnt(0)
	v_mul_f32_e32 v0, v4, v11
	v_fma_f32 v48, v5, v10, -v0
	s_waitcnt vmcnt(4)
	v_mul_f32_e32 v53, v3, v13
	v_mul_f32_e32 v0, v2, v13
	v_fmac_f32_e32 v53, v2, v12
	v_fma_f32 v54, v3, v12, -v0
	ds_read2_b64 v[0:3], v51 offset0:84 offset1:91
	v_mul_f32_e32 v47, v5, v11
	v_fmac_f32_e32 v47, v4, v10
	v_mul_f32_e32 v55, v7, v15
	v_mul_f32_e32 v4, v6, v15
	v_fmac_f32_e32 v55, v6, v14
	v_fma_f32 v15, v7, v14, -v4
	ds_read2_b64 v[4:7], v51 offset0:98 offset1:105
	s_waitcnt vmcnt(3) lgkmcnt(1)
	v_mul_f32_e32 v9, v25, v1
	v_fmac_f32_e32 v9, v24, v0
	v_mul_f32_e32 v0, v25, v0
	v_fma_f32 v10, v24, v1, -v0
	s_waitcnt vmcnt(2)
	v_mul_f32_e32 v0, v2, v27
	v_fma_f32 v25, v3, v26, -v0
	s_waitcnt vmcnt(1) lgkmcnt(0)
	v_mul_f32_e32 v0, v4, v29
	v_mul_f32_e32 v24, v3, v27
	v_fma_f32 v27, v5, v28, -v0
	s_waitcnt vmcnt(0)
	v_mul_f32_e32 v0, v6, v31
	v_fmac_f32_e32 v24, v2, v26
	v_mul_f32_e32 v26, v5, v29
	v_fma_f32 v29, v7, v30, -v0
	ds_read_b64 v[0:1], v50
	v_fmac_f32_e32 v26, v4, v28
	v_mul_f32_e32 v28, v7, v31
	v_mad_i32_i24 v5, v40, s0, v33
	v_fmac_f32_e32 v28, v6, v30
	s_waitcnt lgkmcnt(0)
	v_sub_f32_e32 v13, v0, v17
	v_sub_f32_e32 v14, v1, v20
	;; [unrolled: 1-line block ×4, first 2 shown]
	v_fma_f32 v11, v0, 2.0, -v13
	v_fma_f32 v12, v1, 2.0, -v14
	;; [unrolled: 1-line block ×4, first 2 shown]
	v_mad_i32_i24 v2, v42, s0, v32
	ds_read_b64 v[3:4], v52
	ds_read_b64 v[5:6], v5
	;; [unrolled: 1-line block ×3, first 2 shown]
	v_sub_f32_e32 v0, v11, v0
	v_sub_f32_e32 v1, v12, v1
	v_lshlrev_b32_e32 v16, 2, v36
	v_fma_f32 v9, v11, 2.0, -v0
	v_fma_f32 v10, v12, 2.0, -v1
	v_add_f32_e32 v11, v13, v20
	v_sub_f32_e32 v12, v14, v17
	v_and_or_b32 v16, v16, 16, v34
	v_fma_f32 v13, v13, 2.0, -v11
	v_fma_f32 v14, v14, 2.0, -v12
	v_lshl_add_u32 v16, v16, 3, v49
	s_waitcnt lgkmcnt(0)
	s_barrier
	ds_write2_b64 v16, v[9:10], v[13:14] offset1:4
	ds_write2_b64 v16, v[0:1], v[11:12] offset0:8 offset1:12
	v_sub_f32_e32 v11, v3, v19
	v_sub_f32_e32 v12, v4, v22
	;; [unrolled: 1-line block ×4, first 2 shown]
	v_fma_f32 v3, v3, 2.0, -v11
	v_fma_f32 v4, v4, 2.0, -v12
	;; [unrolled: 1-line block ×4, first 2 shown]
	v_lshlrev_b32_e32 v13, 2, v37
	v_sub_f32_e32 v0, v3, v0
	v_sub_f32_e32 v1, v4, v1
	v_add_f32_e32 v9, v11, v9
	v_sub_f32_e32 v10, v12, v10
	v_and_or_b32 v13, v13, 48, v35
	v_fma_f32 v3, v3, 2.0, -v0
	v_fma_f32 v4, v4, 2.0, -v1
	v_fma_f32 v11, v11, 2.0, -v9
	v_fma_f32 v12, v12, 2.0, -v10
	v_lshl_add_u32 v13, v13, 3, v49
	ds_write2_b64 v13, v[3:4], v[11:12] offset1:4
	ds_write2_b64 v13, v[0:1], v[9:10] offset0:8 offset1:12
	v_sub_f32_e32 v9, v7, v47
	v_sub_f32_e32 v10, v8, v48
	v_fma_f32 v3, v7, 2.0, -v9
	v_fma_f32 v4, v8, 2.0, -v10
	v_sub_f32_e32 v8, v23, v26
	v_sub_f32_e32 v7, v46, v27
	v_fma_f32 v0, v23, 2.0, -v8
	v_fma_f32 v1, v46, 2.0, -v7
	s_movk_i32 s0, 0x70
	v_lshlrev_b32_e32 v11, 2, v42
	v_sub_f32_e32 v0, v3, v0
	v_sub_f32_e32 v1, v4, v1
	v_add_f32_e32 v7, v9, v7
	v_sub_f32_e32 v8, v10, v8
	v_and_or_b32 v11, v11, s0, v43
	v_fma_f32 v3, v3, 2.0, -v0
	v_fma_f32 v4, v4, 2.0, -v1
	;; [unrolled: 1-line block ×4, first 2 shown]
	v_lshl_add_u32 v11, v11, 3, v49
	ds_write2_b64 v11, v[3:4], v[9:10] offset1:4
	ds_write2_b64 v11, v[0:1], v[7:8] offset0:8 offset1:12
	v_sub_f32_e32 v8, v5, v55
	v_sub_f32_e32 v9, v6, v15
	v_fma_f32 v0, v5, 2.0, -v8
	v_fma_f32 v1, v6, 2.0, -v9
	v_sub_f32_e32 v5, v53, v28
	v_sub_f32_e32 v6, v54, v29
	v_fma_f32 v3, v53, 2.0, -v5
	v_fma_f32 v4, v54, 2.0, -v6
	v_lshlrev_b32_e32 v7, 2, v40
	v_sub_f32_e32 v43, v0, v3
	v_sub_f32_e32 v44, v1, v4
	v_fma_f32 v3, v0, 2.0, -v43
	v_fma_f32 v4, v1, 2.0, -v44
	v_add_f32_e32 v0, v8, v6
	v_sub_f32_e32 v1, v9, v5
	v_and_or_b32 v7, v7, s0, v45
	v_fma_f32 v5, v8, 2.0, -v0
	v_fma_f32 v6, v9, 2.0, -v1
	v_lshl_add_u32 v7, v7, 3, v49
	ds_write2_b64 v7, v[3:4], v[5:6] offset1:4
	ds_write2_b64 v7, v[43:44], v[0:1] offset0:8 offset1:12
	s_waitcnt lgkmcnt(0)
	s_barrier
	ds_read2_b64 v[20:23], v51 offset0:16 offset1:23
	ds_read_b64 v[47:48], v50
	ds_read_b64 v[45:46], v52
	ds_read2_b64 v[32:35], v51 offset0:32 offset1:39
	ds_read2_b64 v[28:31], v51 offset0:48 offset1:55
	;; [unrolled: 1-line block ×5, first 2 shown]
	v_cmp_gt_u16_e64 s[0:1], 2, v38
                                        ; implicit-def: $vgpr7
                                        ; implicit-def: $vgpr11
	s_and_saveexec_b64 s[2:3], s[0:1]
	s_cbranch_execz .LBB0_6
; %bb.5:
	ds_read_b64 v[43:44], v2
	ds_read2_b64 v[0:3], v51 offset0:30 offset1:46
	ds_read2_b64 v[4:7], v51 offset0:62 offset1:78
	ds_read2_b64 v[8:11], v51 offset0:94 offset1:110
.LBB0_6:
	s_or_b64 exec, exec, s[2:3]
	v_mul_i32_i24_e32 v61, 6, v37
	v_mov_b32_e32 v62, 0
	v_mul_u32_u24_e32 v53, 6, v36
	v_lshlrev_b64 v[61:62], 3, v[61:62]
	v_lshlrev_b32_e32 v79, 3, v53
	global_load_dwordx4 v[53:56], v79, s[8:9] offset:96
	global_load_dwordx4 v[57:60], v79, s[8:9] offset:112
	v_mov_b32_e32 v63, s9
	v_add_co_u32_e64 v77, s[2:3], s8, v61
	v_addc_co_u32_e64 v78, s[2:3], v63, v62, s[2:3]
	global_load_dwordx4 v[61:64], v[77:78], off offset:96
	global_load_dwordx4 v[65:68], v79, s[8:9] offset:128
	global_load_dwordx4 v[69:72], v[77:78], off offset:112
	global_load_dwordx4 v[73:76], v[77:78], off offset:128
	s_mov_b32 s10, 0xbf5ff5aa
	s_mov_b32 s11, 0x3f3bfb3b
	;; [unrolled: 1-line block ×4, first 2 shown]
	s_waitcnt vmcnt(0) lgkmcnt(0)
	s_barrier
	v_mul_f32_e32 v77, v54, v21
	v_mul_f32_e32 v54, v54, v20
	;; [unrolled: 1-line block ×8, first 2 shown]
	v_fmac_f32_e32 v77, v53, v20
	v_fma_f32 v20, v53, v21, -v54
	v_fmac_f32_e32 v78, v55, v32
	v_fma_f32 v21, v55, v33, -v56
	v_mul_f32_e32 v53, v66, v17
	v_mul_f32_e32 v55, v68, v13
	v_fmac_f32_e32 v79, v57, v28
	v_fma_f32 v28, v57, v29, -v58
	v_fmac_f32_e32 v80, v59, v24
	v_fma_f32 v24, v59, v25, -v60
	v_mul_f32_e32 v54, v66, v16
	v_mul_f32_e32 v56, v68, v12
	v_fmac_f32_e32 v53, v65, v16
	v_fmac_f32_e32 v55, v67, v12
	v_add_f32_e32 v58, v28, v24
	v_sub_f32_e32 v24, v24, v28
	v_mul_f32_e32 v28, v31, v70
	v_mul_f32_e32 v60, v30, v70
	;; [unrolled: 1-line block ×4, first 2 shown]
	v_fma_f32 v16, v65, v17, -v54
	v_fma_f32 v12, v67, v13, -v56
	v_add_f32_e32 v13, v77, v55
	v_add_f32_e32 v17, v78, v53
	v_mul_f32_e32 v29, v62, v23
	v_mul_f32_e32 v25, v62, v22
	;; [unrolled: 1-line block ×4, first 2 shown]
	v_add_f32_e32 v57, v79, v80
	v_mul_f32_e32 v62, v27, v72
	v_mul_f32_e32 v64, v26, v72
	;; [unrolled: 1-line block ×4, first 2 shown]
	v_fmac_f32_e32 v66, v18, v73
	v_fmac_f32_e32 v70, v14, v75
	v_add_f32_e32 v14, v20, v12
	v_sub_f32_e32 v12, v20, v12
	v_add_f32_e32 v18, v21, v16
	v_sub_f32_e32 v16, v21, v16
	;; [unrolled: 2-line block ×3, first 2 shown]
	v_fmac_f32_e32 v32, v63, v34
	v_fmac_f32_e32 v62, v26, v71
	v_fma_f32 v26, v27, v71, -v64
	v_fma_f32 v27, v19, v73, -v68
	v_sub_f32_e32 v19, v78, v53
	v_add_f32_e32 v21, v18, v14
	v_add_f32_e32 v34, v24, v16
	;; [unrolled: 1-line block ×3, first 2 shown]
	v_fmac_f32_e32 v29, v61, v22
	v_fma_f32 v61, v61, v23, -v25
	v_fmac_f32_e32 v28, v30, v69
	v_fma_f32 v30, v31, v69, -v60
	v_fma_f32 v31, v15, v75, -v72
	v_sub_f32_e32 v15, v77, v55
	v_sub_f32_e32 v22, v17, v13
	;; [unrolled: 1-line block ×3, first 2 shown]
	v_add_f32_e32 v13, v59, v19
	v_sub_f32_e32 v53, v24, v16
	v_sub_f32_e32 v24, v12, v24
	;; [unrolled: 1-line block ×3, first 2 shown]
	v_add_f32_e32 v21, v58, v21
	v_add_f32_e32 v34, v34, v12
	;; [unrolled: 1-line block ×3, first 2 shown]
	v_fma_f32 v33, v63, v35, -v33
	v_sub_f32_e32 v23, v18, v14
	v_sub_f32_e32 v14, v14, v58
	;; [unrolled: 1-line block ×7, first 2 shown]
	v_add_f32_e32 v15, v13, v15
	v_add_f32_e32 v13, v21, v48
	v_mov_b32_e32 v57, v12
	v_mul_f32_e32 v25, 0x3f4a47b2, v25
	v_mul_f32_e32 v14, 0x3f4a47b2, v14
	;; [unrolled: 1-line block ×6, first 2 shown]
	v_fmac_f32_e32 v57, 0xbf955555, v20
	v_mov_b32_e32 v20, v13
	v_mul_f32_e32 v56, 0xbf5ff5aa, v16
	v_fmac_f32_e32 v20, 0xbf955555, v21
	v_fma_f32 v21, v22, s11, -v47
	v_fma_f32 v47, v23, s11, -v48
	;; [unrolled: 1-line block ×3, first 2 shown]
	v_fmac_f32_e32 v25, 0x3d64c772, v17
	v_fma_f32 v17, v23, s12, -v14
	v_fma_f32 v23, v19, s10, -v35
	;; [unrolled: 1-line block ×3, first 2 shown]
	v_mul_f32_e32 v55, 0xbf5ff5aa, v19
	v_fmac_f32_e32 v14, 0x3d64c772, v18
	v_fmac_f32_e32 v35, 0xbeae86e6, v54
	;; [unrolled: 1-line block ×3, first 2 shown]
	v_fma_f32 v24, v24, s13, -v56
	v_add_f32_e32 v21, v21, v57
	v_add_f32_e32 v47, v47, v20
	v_fmac_f32_e32 v23, 0xbee1c552, v15
	v_fmac_f32_e32 v48, 0xbee1c552, v34
	v_fma_f32 v54, v54, s13, -v55
	v_add_f32_e32 v25, v25, v57
	v_add_f32_e32 v55, v14, v20
	;; [unrolled: 1-line block ×4, first 2 shown]
	v_fmac_f32_e32 v35, 0xbee1c552, v15
	v_fmac_f32_e32 v53, 0xbee1c552, v34
	;; [unrolled: 1-line block ×3, first 2 shown]
	v_sub_f32_e32 v18, v21, v48
	v_add_f32_e32 v19, v23, v47
	v_add_f32_e32 v20, v48, v21
	v_sub_f32_e32 v21, v47, v23
	v_add_f32_e32 v34, v29, v70
	v_add_f32_e32 v47, v32, v66
	v_fmac_f32_e32 v54, 0xbee1c552, v15
	v_add_f32_e32 v14, v53, v25
	v_sub_f32_e32 v15, v55, v35
	v_add_f32_e32 v16, v24, v22
	v_sub_f32_e32 v22, v22, v24
	v_sub_f32_e32 v24, v25, v53
	v_add_f32_e32 v25, v35, v55
	v_add_f32_e32 v35, v61, v31
	;; [unrolled: 1-line block ×3, first 2 shown]
	v_sub_f32_e32 v27, v33, v27
	v_add_f32_e32 v33, v28, v62
	v_add_f32_e32 v53, v30, v26
	v_sub_f32_e32 v26, v26, v30
	v_add_f32_e32 v30, v47, v34
	v_sub_f32_e32 v17, v56, v54
	;; [unrolled: 2-line block ×3, first 2 shown]
	v_sub_f32_e32 v32, v32, v66
	v_sub_f32_e32 v28, v62, v28
	v_add_f32_e32 v54, v48, v35
	v_add_f32_e32 v30, v33, v30
	v_sub_f32_e32 v29, v29, v70
	v_sub_f32_e32 v55, v47, v34
	;; [unrolled: 1-line block ×4, first 2 shown]
	v_add_f32_e32 v58, v26, v27
	v_sub_f32_e32 v59, v28, v32
	v_sub_f32_e32 v60, v26, v27
	;; [unrolled: 1-line block ×3, first 2 shown]
	v_add_f32_e32 v33, v53, v54
	v_add_f32_e32 v26, v30, v45
	v_sub_f32_e32 v56, v48, v35
	v_sub_f32_e32 v35, v35, v53
	;; [unrolled: 1-line block ×3, first 2 shown]
	v_add_f32_e32 v57, v28, v32
	v_sub_f32_e32 v32, v32, v29
	v_sub_f32_e32 v62, v27, v31
	v_add_f32_e32 v27, v33, v46
	v_mul_f32_e32 v53, 0x3f08b237, v59
	v_mov_b32_e32 v59, v26
	v_sub_f32_e32 v28, v29, v28
	v_add_f32_e32 v29, v57, v29
	v_add_f32_e32 v31, v58, v31
	v_mul_f32_e32 v34, 0x3f4a47b2, v34
	v_mul_f32_e32 v35, 0x3f4a47b2, v35
	;; [unrolled: 1-line block ×7, first 2 shown]
	v_fmac_f32_e32 v59, 0xbf955555, v30
	v_mov_b32_e32 v30, v27
	v_fmac_f32_e32 v30, 0xbf955555, v33
	v_fma_f32 v33, v55, s11, -v45
	v_fma_f32 v45, v56, s11, -v46
	;; [unrolled: 1-line block ×3, first 2 shown]
	v_fmac_f32_e32 v34, 0x3d64c772, v47
	v_fma_f32 v47, v56, s12, -v35
	v_fmac_f32_e32 v35, 0x3d64c772, v48
	v_fma_f32 v48, v32, s10, -v53
	;; [unrolled: 2-line block ×4, first 2 shown]
	v_fma_f32 v57, v61, s13, -v58
	v_add_f32_e32 v58, v34, v59
	v_add_f32_e32 v60, v35, v30
	;; [unrolled: 1-line block ×6, first 2 shown]
	v_fmac_f32_e32 v53, 0xbee1c552, v29
	v_fmac_f32_e32 v54, 0xbee1c552, v31
	;; [unrolled: 1-line block ×6, first 2 shown]
	v_add_f32_e32 v28, v54, v58
	v_sub_f32_e32 v29, v60, v53
	v_add_f32_e32 v30, v57, v45
	v_sub_f32_e32 v31, v46, v56
	v_sub_f32_e32 v32, v34, v55
	v_add_f32_e32 v33, v48, v35
	v_add_f32_e32 v34, v55, v34
	v_sub_f32_e32 v35, v35, v48
	v_sub_f32_e32 v45, v45, v57
	v_add_f32_e32 v46, v56, v46
	v_sub_f32_e32 v47, v58, v54
	v_add_f32_e32 v48, v53, v60
	ds_write2_b64 v51, v[12:13], v[14:15] offset1:16
	ds_write2_b64 v51, v[16:17], v[18:19] offset0:32 offset1:48
	ds_write2_b64 v51, v[20:21], v[22:23] offset0:64 offset1:80
	ds_write_b64 v51, v[24:25] offset:768
	ds_write2_b64 v52, v[26:27], v[28:29] offset1:16
	ds_write2_b64 v52, v[30:31], v[32:33] offset0:32 offset1:48
	ds_write2_b64 v52, v[34:35], v[45:46] offset0:64 offset1:80
	ds_write_b64 v52, v[47:48] offset:768
	s_and_saveexec_b64 s[2:3], s[0:1]
	s_cbranch_execz .LBB0_8
; %bb.7:
	v_and_b32_e32 v12, 15, v42
	v_mul_u32_u24_e32 v12, 6, v12
	v_lshlrev_b32_e32 v24, 3, v12
	global_load_dwordx4 v[12:15], v24, s[8:9] offset:96
	global_load_dwordx4 v[16:19], v24, s[8:9] offset:128
	;; [unrolled: 1-line block ×3, first 2 shown]
	s_waitcnt vmcnt(2)
	v_mul_f32_e32 v24, v1, v13
	s_waitcnt vmcnt(1)
	v_mul_f32_e32 v25, v11, v19
	;; [unrolled: 2-line block ×3, first 2 shown]
	v_mul_f32_e32 v27, v5, v21
	v_mul_f32_e32 v28, v3, v15
	;; [unrolled: 1-line block ×9, first 2 shown]
	v_fmac_f32_e32 v24, v0, v12
	v_fmac_f32_e32 v25, v10, v18
	v_fmac_f32_e32 v26, v6, v22
	v_fmac_f32_e32 v27, v4, v20
	v_fmac_f32_e32 v28, v2, v14
	v_fmac_f32_e32 v29, v8, v16
	v_fma_f32 v0, v11, v18, -v19
	v_fma_f32 v1, v1, v12, -v13
	;; [unrolled: 1-line block ×6, first 2 shown]
	v_sub_f32_e32 v7, v26, v27
	v_sub_f32_e32 v8, v28, v29
	v_add_f32_e32 v9, v1, v0
	v_add_f32_e32 v10, v2, v4
	;; [unrolled: 1-line block ×6, first 2 shown]
	v_sub_f32_e32 v6, v24, v25
	v_sub_f32_e32 v15, v1, v0
	;; [unrolled: 1-line block ×5, first 2 shown]
	v_add_f32_e32 v3, v7, v8
	v_sub_f32_e32 v5, v9, v10
	v_add_f32_e32 v16, v11, v9
	v_sub_f32_e32 v17, v12, v13
	;; [unrolled: 2-line block ×3, first 2 shown]
	v_sub_f32_e32 v7, v10, v11
	v_sub_f32_e32 v18, v13, v14
	;; [unrolled: 1-line block ×4, first 2 shown]
	v_add_f32_e32 v0, v0, v4
	v_sub_f32_e32 v8, v8, v6
	v_sub_f32_e32 v9, v11, v9
	;; [unrolled: 1-line block ×3, first 2 shown]
	v_mul_f32_e32 v12, 0x3f08b237, v1
	v_add_f32_e32 v6, v3, v6
	v_mul_f32_e32 v3, 0x3f4a47b2, v5
	v_add_f32_e32 v5, v10, v16
	;; [unrolled: 2-line block ×4, first 2 shown]
	v_mul_f32_e32 v21, 0xbf5ff5aa, v8
	v_mov_b32_e32 v22, v12
	v_mov_b32_e32 v23, v3
	v_add_f32_e32 v1, v44, v5
	v_mov_b32_e32 v24, v10
	v_add_f32_e32 v0, v43, v13
	v_mul_f32_e32 v14, 0x3d64c772, v7
	v_mul_f32_e32 v16, 0x3d64c772, v18
	v_mov_b32_e32 v25, v17
	v_fma_f32 v21, v2, s13, -v21
	v_fmac_f32_e32 v22, 0xbeae86e6, v2
	v_fmac_f32_e32 v23, 0x3d64c772, v7
	v_mov_b32_e32 v7, v1
	v_fmac_f32_e32 v24, 0x3d64c772, v18
	v_mov_b32_e32 v18, v0
	v_sub_f32_e32 v15, v4, v15
	v_fma_f32 v8, v8, s10, -v12
	v_fma_f32 v3, v9, s12, -v3
	v_fmac_f32_e32 v25, 0xbeae86e6, v20
	v_fmac_f32_e32 v21, 0xbee1c552, v6
	;; [unrolled: 1-line block ×5, first 2 shown]
	v_mul_f32_e32 v4, 0xbf5ff5aa, v15
	v_fma_f32 v9, v9, s11, -v14
	v_fmac_f32_e32 v8, 0xbee1c552, v6
	v_fma_f32 v12, v15, s10, -v17
	v_fma_f32 v6, v11, s11, -v16
	v_fmac_f32_e32 v25, 0xbee1c552, v19
	v_add_f32_e32 v13, v23, v7
	v_add_f32_e32 v23, v24, v18
	v_fma_f32 v10, v11, s12, -v10
	v_fma_f32 v20, v20, s13, -v4
	v_add_f32_e32 v9, v9, v7
	v_fmac_f32_e32 v12, 0xbee1c552, v19
	v_add_f32_e32 v11, v6, v18
	v_add_f32_e32 v24, v3, v7
	v_add_f32_e32 v3, v22, v13
	v_add_f32_e32 v10, v10, v18
	v_fmac_f32_e32 v20, 0xbee1c552, v19
	v_sub_f32_e32 v7, v9, v8
	v_add_f32_e32 v6, v12, v11
	v_add_f32_e32 v9, v8, v9
	v_sub_f32_e32 v8, v11, v12
	v_sub_f32_e32 v13, v13, v22
	v_add_f32_e32 v12, v25, v23
	v_sub_f32_e32 v2, v23, v25
	v_add_f32_e32 v5, v21, v24
	v_sub_f32_e32 v4, v10, v20
	v_sub_f32_e32 v11, v24, v21
	v_add_f32_e32 v10, v20, v10
	ds_write2_b64 v51, v[0:1], v[12:13] offset0:14 offset1:30
	ds_write2_b64 v51, v[10:11], v[8:9] offset0:46 offset1:62
	ds_write2_b64 v51, v[6:7], v[4:5] offset0:78 offset1:94
	ds_write_b64 v51, v[2:3] offset:880
.LBB0_8:
	s_or_b64 exec, exec, s[2:3]
	s_waitcnt lgkmcnt(0)
	s_barrier
	ds_read_b64 v[2:3], v50
	v_sub_u32_e32 v4, v49, v41
	v_cmp_ne_u16_e64 s[0:1], 0, v38
                                        ; implicit-def: $vgpr0
                                        ; implicit-def: $vgpr5
                                        ; implicit-def: $vgpr6
	s_and_saveexec_b64 s[2:3], s[0:1]
	s_xor_b64 s[0:1], exec, s[2:3]
	s_cbranch_execz .LBB0_10
; %bb.9:
	v_mov_b32_e32 v0, 3
	v_lshlrev_b32_sdwa v0, v0, v38 dst_sel:DWORD dst_unused:UNUSED_PAD src0_sel:DWORD src1_sel:WORD_0
	global_load_dwordx2 v[7:8], v0, s[8:9] offset:864
	ds_read_b64 v[0:1], v4 offset:896
	s_waitcnt lgkmcnt(0)
	v_add_f32_e32 v9, v0, v2
	v_sub_f32_e32 v0, v2, v0
	v_add_f32_e32 v5, v1, v3
	v_sub_f32_e32 v1, v3, v1
	v_mul_f32_e32 v3, 0.5, v0
	v_mul_f32_e32 v2, 0.5, v5
	;; [unrolled: 1-line block ×3, first 2 shown]
	s_waitcnt vmcnt(0)
	v_mul_f32_e32 v1, v8, v3
	v_fma_f32 v6, v2, v8, v0
	v_fma_f32 v8, v2, v8, -v0
	v_fma_f32 v5, 0.5, v9, v1
	v_fma_f32 v0, v9, 0.5, -v1
	v_fma_f32 v6, -v7, v3, v6
	v_fmac_f32_e32 v5, v7, v2
	v_fma_f32 v0, -v7, v2, v0
	v_fma_f32 v1, -v7, v3, v8
                                        ; implicit-def: $vgpr2_vgpr3
.LBB0_10:
	s_andn2_saveexec_b64 s[0:1], s[0:1]
	s_cbranch_execz .LBB0_12
; %bb.11:
	ds_read_b32 v1, v49 offset:452
	s_waitcnt lgkmcnt(1)
	v_add_f32_e32 v5, v2, v3
	v_sub_f32_e32 v0, v2, v3
	v_mov_b32_e32 v6, 0
	s_waitcnt lgkmcnt(0)
	v_xor_b32_e32 v1, 0x80000000, v1
	ds_write_b32 v49, v1 offset:452
	v_mov_b32_e32 v1, 0
.LBB0_12:
	s_or_b64 exec, exec, s[0:1]
	v_mov_b32_e32 v38, 0
	s_waitcnt lgkmcnt(0)
	v_lshlrev_b64 v[2:3], 3, v[37:38]
	v_mov_b32_e32 v7, s9
	v_add_co_u32_e64 v2, s[0:1], s8, v2
	v_addc_co_u32_e64 v3, s[0:1], v7, v3, s[0:1]
	global_load_dwordx2 v[2:3], v[2:3], off offset:864
	v_mov_b32_e32 v43, v38
	v_lshlrev_b64 v[7:8], 3, v[42:43]
	v_mov_b32_e32 v9, s9
	v_add_co_u32_e64 v7, s[0:1], s8, v7
	v_addc_co_u32_e64 v8, s[0:1], v9, v8, s[0:1]
	global_load_dwordx2 v[7:8], v[7:8], off offset:864
	v_mov_b32_e32 v41, v38
	;; [unrolled: 6-line block ×3, first 2 shown]
	s_add_u32 s0, s8, 0x360
	v_lshlrev_b64 v[11:12], 3, v[36:37]
	s_addc_u32 s1, s9, 0
	v_mov_b32_e32 v13, s1
	v_add_co_u32_e64 v11, s[0:1], s0, v11
	ds_write2_b32 v50, v5, v6 offset1:1
	ds_write_b64 v4, v[0:1] offset:896
	v_addc_co_u32_e64 v12, s[0:1], v13, v12, s[0:1]
	ds_read_b64 v[0:1], v52
	ds_read_b64 v[5:6], v4 offset:840
	global_load_dwordx2 v[13:14], v[11:12], off offset:224
	v_lshl_add_u32 v15, v42, 3, v49
	s_waitcnt lgkmcnt(0)
	v_add_f32_e32 v16, v0, v5
	v_sub_f32_e32 v0, v0, v5
	v_add_f32_e32 v17, v1, v6
	v_sub_f32_e32 v1, v1, v6
	v_mul_f32_e32 v0, 0.5, v0
	v_mul_f32_e32 v5, 0.5, v17
	;; [unrolled: 1-line block ×3, first 2 shown]
	s_waitcnt vmcnt(3)
	v_mul_f32_e32 v6, v3, v0
	v_fma_f32 v17, v5, v3, v1
	v_fma_f32 v1, v5, v3, -v1
	v_fma_f32 v3, 0.5, v16, v6
	v_fma_f32 v17, -v2, v0, v17
	v_fma_f32 v6, v16, 0.5, -v6
	v_fmac_f32_e32 v3, v2, v5
	v_fma_f32 v1, -v2, v0, v1
	v_fma_f32 v0, -v2, v5, v6
	ds_write2_b32 v52, v3, v17 offset1:1
	ds_write_b64 v4, v[0:1] offset:840
	ds_read_b64 v[0:1], v15
	ds_read_b64 v[2:3], v4 offset:784
	global_load_dwordx2 v[5:6], v[11:12], off offset:280
	v_lshl_add_u32 v16, v40, 3, v49
	s_waitcnt lgkmcnt(0)
	v_add_f32_e32 v17, v0, v2
	v_sub_f32_e32 v0, v0, v2
	v_add_f32_e32 v18, v1, v3
	v_sub_f32_e32 v1, v1, v3
	v_mul_f32_e32 v0, 0.5, v0
	v_mul_f32_e32 v2, 0.5, v18
	;; [unrolled: 1-line block ×3, first 2 shown]
	s_waitcnt vmcnt(3)
	v_mul_f32_e32 v3, v8, v0
	v_fma_f32 v18, v2, v8, v1
	v_fma_f32 v1, v2, v8, -v1
	v_fma_f32 v8, 0.5, v17, v3
	v_fma_f32 v18, -v7, v0, v18
	v_fma_f32 v3, v17, 0.5, -v3
	v_fmac_f32_e32 v8, v7, v2
	v_fma_f32 v1, -v7, v0, v1
	v_fma_f32 v0, -v7, v2, v3
	ds_write2_b32 v15, v8, v18 offset1:1
	ds_write_b64 v4, v[0:1] offset:784
	ds_read_b64 v[0:1], v16
	ds_read_b64 v[2:3], v4 offset:728
	global_load_dwordx2 v[7:8], v[11:12], off offset:336
	s_waitcnt lgkmcnt(0)
	v_add_f32_e32 v15, v0, v2
	v_sub_f32_e32 v0, v0, v2
	v_add_f32_e32 v17, v1, v3
	v_sub_f32_e32 v1, v1, v3
	v_mul_f32_e32 v0, 0.5, v0
	v_mul_f32_e32 v2, 0.5, v17
	;; [unrolled: 1-line block ×3, first 2 shown]
	s_waitcnt vmcnt(3)
	v_mul_f32_e32 v3, v10, v0
	v_fma_f32 v17, v2, v10, v1
	v_fma_f32 v1, v2, v10, -v1
	v_fma_f32 v10, 0.5, v15, v3
	v_fma_f32 v17, -v9, v0, v17
	v_fma_f32 v3, v15, 0.5, -v3
	v_fmac_f32_e32 v10, v9, v2
	v_fma_f32 v1, -v9, v0, v1
	v_fma_f32 v0, -v9, v2, v3
	ds_write2_b32 v16, v10, v17 offset1:1
	ds_write_b64 v4, v[0:1] offset:728
	ds_read_b64 v[0:1], v50 offset:224
	ds_read_b64 v[2:3], v4 offset:672
	global_load_dwordx2 v[9:10], v[11:12], off offset:392
	s_waitcnt lgkmcnt(0)
	v_add_f32_e32 v11, v0, v2
	v_sub_f32_e32 v0, v0, v2
	v_add_f32_e32 v12, v1, v3
	v_sub_f32_e32 v1, v1, v3
	v_mul_f32_e32 v0, 0.5, v0
	v_mul_f32_e32 v2, 0.5, v12
	;; [unrolled: 1-line block ×3, first 2 shown]
	s_waitcnt vmcnt(3)
	v_mul_f32_e32 v3, v14, v0
	v_fma_f32 v12, v2, v14, v1
	v_fma_f32 v1, v2, v14, -v1
	v_fma_f32 v14, 0.5, v11, v3
	v_fma_f32 v12, -v13, v0, v12
	v_fma_f32 v3, v11, 0.5, -v3
	v_fmac_f32_e32 v14, v13, v2
	v_fma_f32 v1, -v13, v0, v1
	v_fma_f32 v0, -v13, v2, v3
	ds_write2_b32 v50, v14, v12 offset0:56 offset1:57
	ds_write_b64 v4, v[0:1] offset:672
	ds_read_b64 v[0:1], v50 offset:280
	ds_read_b64 v[2:3], v4 offset:616
	s_waitcnt lgkmcnt(0)
	v_add_f32_e32 v11, v0, v2
	v_sub_f32_e32 v0, v0, v2
	v_add_f32_e32 v12, v1, v3
	v_sub_f32_e32 v1, v1, v3
	v_mul_f32_e32 v3, 0.5, v0
	v_mul_f32_e32 v2, 0.5, v12
	;; [unrolled: 1-line block ×3, first 2 shown]
	s_waitcnt vmcnt(2)
	v_mul_f32_e32 v0, v6, v3
	v_fma_f32 v12, 0.5, v11, v0
	v_fma_f32 v13, v2, v6, v1
	v_fmac_f32_e32 v12, v5, v2
	v_fma_f32 v13, -v5, v3, v13
	v_fma_f32 v0, v11, 0.5, -v0
	v_fma_f32 v1, v2, v6, -v1
	v_fma_f32 v0, -v5, v2, v0
	v_fma_f32 v1, -v5, v3, v1
	ds_write2_b32 v50, v12, v13 offset0:70 offset1:71
	ds_write_b64 v4, v[0:1] offset:616
	ds_read_b64 v[0:1], v50 offset:336
	ds_read_b64 v[2:3], v4 offset:560
	s_waitcnt lgkmcnt(0)
	v_add_f32_e32 v5, v0, v2
	v_sub_f32_e32 v0, v0, v2
	v_add_f32_e32 v6, v1, v3
	v_sub_f32_e32 v1, v1, v3
	v_mul_f32_e32 v2, 0.5, v0
	v_mul_f32_e32 v6, 0.5, v6
	;; [unrolled: 1-line block ×3, first 2 shown]
	s_waitcnt vmcnt(1)
	v_mul_f32_e32 v0, v8, v2
	v_fma_f32 v3, 0.5, v5, v0
	v_fma_f32 v11, v6, v8, v1
	v_fma_f32 v1, v6, v8, -v1
	v_fmac_f32_e32 v3, v7, v6
	v_fma_f32 v11, -v7, v2, v11
	v_fma_f32 v0, v5, 0.5, -v0
	v_fma_f32 v1, -v7, v2, v1
	v_xor_b32_e32 v2, 63, v36
	v_fma_f32 v0, -v7, v6, v0
	ds_write2_b32 v50, v3, v11 offset0:84 offset1:85
	ds_write_b64 v4, v[0:1] offset:560
	v_lshl_add_u32 v4, v2, 3, v49
	ds_read_b64 v[0:1], v50 offset:392
	ds_read_b64 v[2:3], v4
	s_waitcnt lgkmcnt(0)
	v_add_f32_e32 v5, v0, v2
	v_sub_f32_e32 v0, v0, v2
	v_add_f32_e32 v6, v1, v3
	v_sub_f32_e32 v1, v1, v3
	v_mul_f32_e32 v2, 0.5, v0
	v_mul_f32_e32 v6, 0.5, v6
	;; [unrolled: 1-line block ×3, first 2 shown]
	s_waitcnt vmcnt(0)
	v_mul_f32_e32 v0, v10, v2
	v_fma_f32 v3, 0.5, v5, v0
	v_fma_f32 v7, v6, v10, v1
	v_fmac_f32_e32 v3, v9, v6
	v_fma_f32 v7, -v9, v2, v7
	v_fma_f32 v0, v5, 0.5, -v0
	v_fma_f32 v1, v6, v10, -v1
	v_fma_f32 v0, -v9, v6, v0
	v_fma_f32 v1, -v9, v2, v1
	ds_write2_b32 v50, v3, v7 offset0:98 offset1:99
	ds_write_b64 v4, v[0:1]
	s_waitcnt lgkmcnt(0)
	s_barrier
	s_and_saveexec_b64 s[0:1], vcc
	s_cbranch_execz .LBB0_15
; %bb.13:
	v_mad_u64_u32 v[0:1], s[0:1], s6, v39, 0
	s_load_dwordx2 s[0:1], s[4:5], 0x58
	v_mov_b32_e32 v37, v38
	v_mad_u64_u32 v[1:2], s[2:3], s7, v39, v[1:2]
	v_lshl_add_u32 v2, v36, 3, v49
	s_waitcnt lgkmcnt(0)
	v_mov_b32_e32 v3, s1
	v_lshlrev_b64 v[0:1], 3, v[0:1]
	v_lshlrev_b64 v[7:8], 3, v[36:37]
	v_add_co_u32_e32 v0, vcc, s0, v0
	v_addc_co_u32_e32 v1, vcc, v3, v1, vcc
	ds_read2_b64 v[3:6], v2 offset1:7
	v_add_co_u32_e32 v7, vcc, v0, v7
	v_addc_co_u32_e32 v8, vcc, v1, v8, vcc
	v_add_u32_e32 v37, 7, v36
	s_waitcnt lgkmcnt(0)
	global_store_dwordx2 v[7:8], v[3:4], off
	v_lshlrev_b64 v[3:4], 3, v[37:38]
	v_add_u32_e32 v37, 14, v36
	v_add_co_u32_e32 v3, vcc, v0, v3
	v_addc_co_u32_e32 v4, vcc, v1, v4, vcc
	global_store_dwordx2 v[3:4], v[5:6], off
	ds_read2_b64 v[3:6], v2 offset0:14 offset1:21
	v_lshlrev_b64 v[7:8], 3, v[37:38]
	v_add_u32_e32 v37, 21, v36
	v_add_co_u32_e32 v7, vcc, v0, v7
	v_addc_co_u32_e32 v8, vcc, v1, v8, vcc
	s_waitcnt lgkmcnt(0)
	global_store_dwordx2 v[7:8], v[3:4], off
	v_lshlrev_b64 v[3:4], 3, v[37:38]
	v_add_u32_e32 v37, 28, v36
	v_add_co_u32_e32 v3, vcc, v0, v3
	v_addc_co_u32_e32 v4, vcc, v1, v4, vcc
	global_store_dwordx2 v[3:4], v[5:6], off
	ds_read2_b64 v[3:6], v2 offset0:28 offset1:35
	v_lshlrev_b64 v[7:8], 3, v[37:38]
	v_add_u32_e32 v37, 35, v36
	v_add_co_u32_e32 v7, vcc, v0, v7
	v_addc_co_u32_e32 v8, vcc, v1, v8, vcc
	;; [unrolled: 12-line block ×4, first 2 shown]
	s_waitcnt lgkmcnt(0)
	global_store_dwordx2 v[7:8], v[3:4], off
	v_lshlrev_b64 v[3:4], 3, v[37:38]
	ds_read2_b64 v[7:10], v2 offset0:70 offset1:77
	v_add_co_u32_e32 v3, vcc, v0, v3
	v_addc_co_u32_e32 v4, vcc, v1, v4, vcc
	v_add_u32_e32 v37, 0x46, v36
	global_store_dwordx2 v[3:4], v[5:6], off
	v_lshlrev_b64 v[3:4], 3, v[37:38]
	v_add_u32_e32 v37, 0x4d, v36
	v_add_co_u32_e32 v3, vcc, v0, v3
	v_addc_co_u32_e32 v4, vcc, v1, v4, vcc
	s_waitcnt lgkmcnt(0)
	global_store_dwordx2 v[3:4], v[7:8], off
	v_lshlrev_b64 v[3:4], 3, v[37:38]
	v_add_u32_e32 v37, 0x54, v36
	v_add_co_u32_e32 v3, vcc, v0, v3
	v_addc_co_u32_e32 v4, vcc, v1, v4, vcc
	global_store_dwordx2 v[3:4], v[9:10], off
	ds_read2_b64 v[3:6], v2 offset0:84 offset1:91
	v_lshlrev_b64 v[7:8], 3, v[37:38]
	v_add_u32_e32 v37, 0x5b, v36
	v_add_co_u32_e32 v7, vcc, v0, v7
	v_addc_co_u32_e32 v8, vcc, v1, v8, vcc
	s_waitcnt lgkmcnt(0)
	global_store_dwordx2 v[7:8], v[3:4], off
	v_lshlrev_b64 v[3:4], 3, v[37:38]
	v_add_u32_e32 v37, 0x62, v36
	v_add_co_u32_e32 v3, vcc, v0, v3
	v_addc_co_u32_e32 v4, vcc, v1, v4, vcc
	global_store_dwordx2 v[3:4], v[5:6], off
	ds_read2_b64 v[3:6], v2 offset0:98 offset1:105
	v_lshlrev_b64 v[7:8], 3, v[37:38]
	v_add_u32_e32 v37, 0x69, v36
	v_add_co_u32_e32 v7, vcc, v0, v7
	v_addc_co_u32_e32 v8, vcc, v1, v8, vcc
	s_waitcnt lgkmcnt(0)
	global_store_dwordx2 v[7:8], v[3:4], off
	v_lshlrev_b64 v[3:4], 3, v[37:38]
	v_add_co_u32_e32 v3, vcc, v0, v3
	v_addc_co_u32_e32 v4, vcc, v1, v4, vcc
	v_cmp_eq_u32_e32 vcc, 6, v36
	global_store_dwordx2 v[3:4], v[5:6], off
	s_and_b64 exec, exec, vcc
	s_cbranch_execz .LBB0_15
; %bb.14:
	ds_read_b64 v[2:3], v2 offset:848
	s_waitcnt lgkmcnt(0)
	global_store_dwordx2 v[0:1], v[2:3], off offset:896
.LBB0_15:
	s_endpgm
	.section	.rodata,"a",@progbits
	.p2align	6, 0x0
	.amdhsa_kernel fft_rtc_back_len112_factors_4_4_7_wgs_126_tpt_7_halfLds_dim1_sp_op_CI_CI_unitstride_sbrr_R2C_dirReg
		.amdhsa_group_segment_fixed_size 0
		.amdhsa_private_segment_fixed_size 0
		.amdhsa_kernarg_size 96
		.amdhsa_user_sgpr_count 6
		.amdhsa_user_sgpr_private_segment_buffer 1
		.amdhsa_user_sgpr_dispatch_ptr 0
		.amdhsa_user_sgpr_queue_ptr 0
		.amdhsa_user_sgpr_kernarg_segment_ptr 1
		.amdhsa_user_sgpr_dispatch_id 0
		.amdhsa_user_sgpr_flat_scratch_init 0
		.amdhsa_user_sgpr_private_segment_size 0
		.amdhsa_uses_dynamic_stack 0
		.amdhsa_system_sgpr_private_segment_wavefront_offset 0
		.amdhsa_system_sgpr_workgroup_id_x 1
		.amdhsa_system_sgpr_workgroup_id_y 0
		.amdhsa_system_sgpr_workgroup_id_z 0
		.amdhsa_system_sgpr_workgroup_info 0
		.amdhsa_system_vgpr_workitem_id 0
		.amdhsa_next_free_vgpr 81
		.amdhsa_next_free_sgpr 14
		.amdhsa_reserve_vcc 1
		.amdhsa_reserve_flat_scratch 0
		.amdhsa_float_round_mode_32 0
		.amdhsa_float_round_mode_16_64 0
		.amdhsa_float_denorm_mode_32 3
		.amdhsa_float_denorm_mode_16_64 3
		.amdhsa_dx10_clamp 1
		.amdhsa_ieee_mode 1
		.amdhsa_fp16_overflow 0
		.amdhsa_exception_fp_ieee_invalid_op 0
		.amdhsa_exception_fp_denorm_src 0
		.amdhsa_exception_fp_ieee_div_zero 0
		.amdhsa_exception_fp_ieee_overflow 0
		.amdhsa_exception_fp_ieee_underflow 0
		.amdhsa_exception_fp_ieee_inexact 0
		.amdhsa_exception_int_div_zero 0
	.end_amdhsa_kernel
	.text
.Lfunc_end0:
	.size	fft_rtc_back_len112_factors_4_4_7_wgs_126_tpt_7_halfLds_dim1_sp_op_CI_CI_unitstride_sbrr_R2C_dirReg, .Lfunc_end0-fft_rtc_back_len112_factors_4_4_7_wgs_126_tpt_7_halfLds_dim1_sp_op_CI_CI_unitstride_sbrr_R2C_dirReg
                                        ; -- End function
	.section	.AMDGPU.csdata,"",@progbits
; Kernel info:
; codeLenInByte = 6376
; NumSgprs: 18
; NumVgprs: 81
; ScratchSize: 0
; MemoryBound: 0
; FloatMode: 240
; IeeeMode: 1
; LDSByteSize: 0 bytes/workgroup (compile time only)
; SGPRBlocks: 2
; VGPRBlocks: 20
; NumSGPRsForWavesPerEU: 18
; NumVGPRsForWavesPerEU: 81
; Occupancy: 3
; WaveLimiterHint : 1
; COMPUTE_PGM_RSRC2:SCRATCH_EN: 0
; COMPUTE_PGM_RSRC2:USER_SGPR: 6
; COMPUTE_PGM_RSRC2:TRAP_HANDLER: 0
; COMPUTE_PGM_RSRC2:TGID_X_EN: 1
; COMPUTE_PGM_RSRC2:TGID_Y_EN: 0
; COMPUTE_PGM_RSRC2:TGID_Z_EN: 0
; COMPUTE_PGM_RSRC2:TIDIG_COMP_CNT: 0
	.type	__hip_cuid_643c4713fd8b2726,@object ; @__hip_cuid_643c4713fd8b2726
	.section	.bss,"aw",@nobits
	.globl	__hip_cuid_643c4713fd8b2726
__hip_cuid_643c4713fd8b2726:
	.byte	0                               ; 0x0
	.size	__hip_cuid_643c4713fd8b2726, 1

	.ident	"AMD clang version 19.0.0git (https://github.com/RadeonOpenCompute/llvm-project roc-6.4.0 25133 c7fe45cf4b819c5991fe208aaa96edf142730f1d)"
	.section	".note.GNU-stack","",@progbits
	.addrsig
	.addrsig_sym __hip_cuid_643c4713fd8b2726
	.amdgpu_metadata
---
amdhsa.kernels:
  - .args:
      - .actual_access:  read_only
        .address_space:  global
        .offset:         0
        .size:           8
        .value_kind:     global_buffer
      - .actual_access:  read_only
        .address_space:  global
        .offset:         8
        .size:           8
        .value_kind:     global_buffer
      - .actual_access:  read_only
        .address_space:  global
        .offset:         16
        .size:           8
        .value_kind:     global_buffer
      - .actual_access:  read_only
        .address_space:  global
        .offset:         24
        .size:           8
        .value_kind:     global_buffer
      - .offset:         32
        .size:           8
        .value_kind:     by_value
      - .actual_access:  read_only
        .address_space:  global
        .offset:         40
        .size:           8
        .value_kind:     global_buffer
      - .actual_access:  read_only
        .address_space:  global
        .offset:         48
        .size:           8
        .value_kind:     global_buffer
      - .offset:         56
        .size:           4
        .value_kind:     by_value
      - .actual_access:  read_only
        .address_space:  global
        .offset:         64
        .size:           8
        .value_kind:     global_buffer
      - .actual_access:  read_only
        .address_space:  global
        .offset:         72
        .size:           8
        .value_kind:     global_buffer
      - .actual_access:  read_only
        .address_space:  global
        .offset:         80
        .size:           8
        .value_kind:     global_buffer
      - .actual_access:  write_only
        .address_space:  global
        .offset:         88
        .size:           8
        .value_kind:     global_buffer
    .group_segment_fixed_size: 0
    .kernarg_segment_align: 8
    .kernarg_segment_size: 96
    .language:       OpenCL C
    .language_version:
      - 2
      - 0
    .max_flat_workgroup_size: 126
    .name:           fft_rtc_back_len112_factors_4_4_7_wgs_126_tpt_7_halfLds_dim1_sp_op_CI_CI_unitstride_sbrr_R2C_dirReg
    .private_segment_fixed_size: 0
    .sgpr_count:     18
    .sgpr_spill_count: 0
    .symbol:         fft_rtc_back_len112_factors_4_4_7_wgs_126_tpt_7_halfLds_dim1_sp_op_CI_CI_unitstride_sbrr_R2C_dirReg.kd
    .uniform_work_group_size: 1
    .uses_dynamic_stack: false
    .vgpr_count:     81
    .vgpr_spill_count: 0
    .wavefront_size: 64
amdhsa.target:   amdgcn-amd-amdhsa--gfx906
amdhsa.version:
  - 1
  - 2
...

	.end_amdgpu_metadata
